;; amdgpu-corpus repo=ROCm/rocFFT kind=compiled arch=gfx90a opt=O3
	.text
	.amdgcn_target "amdgcn-amd-amdhsa--gfx90a"
	.amdhsa_code_object_version 6
	.protected	bluestein_single_back_len84_dim1_dp_op_CI_CI ; -- Begin function bluestein_single_back_len84_dim1_dp_op_CI_CI
	.globl	bluestein_single_back_len84_dim1_dp_op_CI_CI
	.p2align	8
	.type	bluestein_single_back_len84_dim1_dp_op_CI_CI,@function
bluestein_single_back_len84_dim1_dp_op_CI_CI: ; @bluestein_single_back_len84_dim1_dp_op_CI_CI
; %bb.0:
	s_load_dwordx4 s[16:19], s[4:5], 0x28
	v_mul_u32_u24_e32 v1, 0x1556, v0
	v_lshrrev_b32_e32 v2, 16, v1
	v_mad_u64_u32 v[134:135], s[0:1], s6, 10, v[2:3]
	v_mov_b32_e32 v135, 0
	s_waitcnt lgkmcnt(0)
	v_cmp_gt_u64_e32 vcc, s[16:17], v[134:135]
	s_and_saveexec_b64 s[0:1], vcc
	s_cbranch_execz .LBB0_18
; %bb.1:
	s_load_dwordx4 s[0:3], s[4:5], 0x18
	v_mul_lo_u16_e32 v1, 12, v2
	v_sub_u16_e32 v132, v0, v1
	v_or_b32_e32 v133, 48, v132
	v_mov_b32_e32 v10, 0xc0
	s_waitcnt lgkmcnt(0)
	s_load_dwordx4 s[12:15], s[0:1], 0x0
	s_load_dwordx4 s[8:11], s[4:5], 0x0
	v_lshlrev_b32_e32 v76, 4, v132
	s_waitcnt lgkmcnt(0)
	v_mad_u64_u32 v[0:1], s[0:1], s14, v134, 0
	v_mov_b32_e32 v4, v1
	v_mad_u64_u32 v[2:3], s[0:1], s12, v132, 0
	v_mad_u64_u32 v[4:5], s[0:1], s15, v134, v[4:5]
	v_mov_b32_e32 v6, v3
	v_mov_b32_e32 v1, v4
	v_mad_u64_u32 v[4:5], s[0:1], s13, v132, v[6:7]
	v_lshlrev_b64 v[0:1], 4, v[0:1]
	v_mov_b32_e32 v3, v4
	v_mov_b32_e32 v4, s19
	v_add_co_u32_e32 v6, vcc, s18, v0
	v_addc_co_u32_e32 v7, vcc, v4, v1, vcc
	v_lshlrev_b64 v[0:1], 4, v[2:3]
	v_mad_u64_u32 v[2:3], s[0:1], s12, v133, 0
	v_mov_b32_e32 v4, v3
	v_mad_u64_u32 v[4:5], s[0:1], s13, v133, v[4:5]
	v_add_co_u32_e32 v0, vcc, v6, v0
	v_mov_b32_e32 v3, v4
	v_addc_co_u32_e32 v1, vcc, v7, v1, vcc
	v_lshlrev_b64 v[2:3], 4, v[2:3]
	global_load_dwordx4 v[28:31], v[0:1], off
	v_add_co_u32_e32 v2, vcc, v6, v2
	v_mad_u64_u32 v[0:1], s[0:1], s12, v10, v[0:1]
	s_mul_i32 s6, s13, 0xc0
	v_addc_co_u32_e32 v3, vcc, v7, v3, vcc
	v_add_u32_e32 v1, s6, v1
	global_load_dwordx4 v[32:35], v[2:3], off
	global_load_dwordx4 v[24:27], v76, s[8:9]
	global_load_dwordx4 v[4:7], v76, s[8:9] offset:768
	global_load_dwordx4 v[20:23], v76, s[8:9] offset:192
	global_load_dwordx4 v[36:39], v[0:1], off
	v_mad_u64_u32 v[0:1], s[0:1], s12, v10, v[0:1]
	v_add_u32_e32 v1, s6, v1
	global_load_dwordx4 v[40:43], v[0:1], off
	global_load_dwordx4 v[16:19], v76, s[8:9] offset:384
	v_mad_u64_u32 v[0:1], s[0:1], s12, v10, v[0:1]
	v_add_u32_e32 v1, s6, v1
	v_mov_b32_e32 v2, 0x180
	global_load_dwordx4 v[12:15], v76, s[8:9] offset:576
	global_load_dwordx4 v[44:47], v[0:1], off
	v_mad_u64_u32 v[8:9], s[0:1], s12, v2, v[0:1]
	s_mul_i32 s0, s13, 0x180
	v_add_u32_e32 v9, s0, v9
	global_load_dwordx4 v[48:51], v[8:9], off
	global_load_dwordx4 v[0:3], v76, s[8:9] offset:960
	v_mad_u64_u32 v[56:57], s[0:1], s12, v10, v[8:9]
	v_add_u32_e32 v57, s6, v57
	global_load_dwordx4 v[8:11], v76, s[8:9] offset:1152
	global_load_dwordx4 v[52:55], v[56:57], off
	s_mov_b32 s0, 0xcccccccd
	v_mul_hi_u32 v56, v134, s0
	v_lshrrev_b32_e32 v56, 3, v56
	v_mul_lo_u32 v56, v56, 10
	v_sub_u32_e32 v56, v134, v56
	v_mul_u32_u24_e32 v56, 0x54, v56
	v_lshlrev_b32_e32 v138, 4, v56
	v_add_u32_e32 v135, v76, v138
	s_load_dwordx2 s[12:13], s[4:5], 0x38
	s_mov_b32 s0, 0x37e14327
	s_load_dwordx4 s[4:7], s[2:3], 0x0
	s_mov_b32 s1, 0x3fe948f6
	s_mov_b32 s14, 0xaaaaaaaa
	;; [unrolled: 1-line block ×5, first 2 shown]
	v_cmp_gt_u16_e32 vcc, 6, v132
	s_waitcnt vmcnt(11)
	v_mul_f64 v[56:57], v[30:31], v[26:27]
	v_mul_f64 v[58:59], v[28:29], v[26:27]
	v_fmac_f64_e32 v[56:57], v[28:29], v[24:25]
	v_fma_f64 v[58:59], v[30:31], v[24:25], -v[58:59]
	s_waitcnt vmcnt(8)
	v_mul_f64 v[28:29], v[38:39], v[22:23]
	v_mul_f64 v[30:31], v[36:37], v[22:23]
	v_fmac_f64_e32 v[28:29], v[36:37], v[20:21]
	v_fma_f64 v[30:31], v[38:39], v[20:21], -v[30:31]
	ds_write_b128 v135, v[28:31] offset:192
	s_waitcnt vmcnt(6)
	v_mul_f64 v[28:29], v[42:43], v[18:19]
	v_mul_f64 v[30:31], v[40:41], v[18:19]
	v_fmac_f64_e32 v[28:29], v[40:41], v[16:17]
	v_fma_f64 v[30:31], v[42:43], v[16:17], -v[30:31]
	ds_write_b128 v135, v[28:31] offset:384
	;; [unrolled: 6-line block ×3, first 2 shown]
	v_mul_f64 v[28:29], v[32:33], v[6:7]
	v_fma_f64 v[62:63], v[34:35], v[4:5], -v[28:29]
	s_waitcnt vmcnt(2)
	v_mul_f64 v[28:29], v[50:51], v[2:3]
	v_mul_f64 v[30:31], v[48:49], v[2:3]
	v_fmac_f64_e32 v[28:29], v[48:49], v[0:1]
	v_fma_f64 v[30:31], v[50:51], v[0:1], -v[30:31]
	v_mul_f64 v[60:61], v[34:35], v[6:7]
	ds_write_b128 v135, v[28:31] offset:960
	s_waitcnt vmcnt(0)
	v_mul_f64 v[28:29], v[54:55], v[10:11]
	v_mul_f64 v[30:31], v[52:53], v[10:11]
	v_fmac_f64_e32 v[60:61], v[32:33], v[4:5]
	v_fmac_f64_e32 v[28:29], v[52:53], v[8:9]
	v_fma_f64 v[30:31], v[54:55], v[8:9], -v[30:31]
	ds_write_b128 v135, v[56:59]
	ds_write_b128 v135, v[60:63] offset:768
	ds_write_b128 v135, v[28:31] offset:1152
	s_waitcnt lgkmcnt(0)
	s_barrier
	ds_read_b128 v[28:31], v135
	ds_read_b128 v[32:35], v135 offset:192
	ds_read_b128 v[36:39], v135 offset:1152
	;; [unrolled: 1-line block ×6, first 2 shown]
	s_waitcnt lgkmcnt(4)
	v_add_f64 v[56:57], v[32:33], v[36:37]
	v_add_f64 v[32:33], v[32:33], -v[36:37]
	v_add_f64 v[58:59], v[34:35], v[38:39]
	v_add_f64 v[34:35], v[34:35], -v[38:39]
	s_waitcnt lgkmcnt(0)
	v_add_f64 v[36:37], v[40:41], v[52:53]
	v_add_f64 v[38:39], v[42:43], v[54:55]
	v_add_f64 v[40:41], v[40:41], -v[52:53]
	v_add_f64 v[52:53], v[44:45], v[48:49]
	v_add_f64 v[44:45], v[48:49], -v[44:45]
	;; [unrolled: 2-line block ×4, first 2 shown]
	v_add_f64 v[50:51], v[38:39], v[58:59]
	v_add_f64 v[48:49], v[52:53], v[48:49]
	v_add_f64 v[60:61], v[36:37], -v[56:57]
	v_add_f64 v[62:63], v[38:39], -v[58:59]
	;; [unrolled: 1-line block ×4, first 2 shown]
	v_add_f64 v[50:51], v[54:55], v[50:51]
	v_add_f64 v[28:29], v[28:29], v[48:49]
	v_add_f64 v[36:37], v[52:53], -v[36:37]
	v_add_f64 v[38:39], v[54:55], -v[38:39]
	v_add_f64 v[30:31], v[30:31], v[50:51]
	v_mul_f64 v[52:53], v[56:57], s[0:1]
	v_mul_f64 v[54:55], v[58:59], s[0:1]
	s_mov_b32 s0, 0x36b3c0b5
	v_pk_mov_b32 v[72:73], v[28:29], v[28:29] op_sel:[0,1]
	s_mov_b32 s1, 0x3fac98ee
	v_fmac_f64_e32 v[72:73], s[14:15], v[48:49]
	v_pk_mov_b32 v[48:49], v[30:31], v[30:31] op_sel:[0,1]
	v_add_f64 v[64:65], v[44:45], v[40:41]
	v_add_f64 v[66:67], v[46:47], v[42:43]
	v_add_f64 v[68:69], v[44:45], -v[40:41]
	v_add_f64 v[70:71], v[46:47], -v[42:43]
	v_mul_f64 v[56:57], v[36:37], s[0:1]
	v_mul_f64 v[58:59], v[38:39], s[0:1]
	v_fmac_f64_e32 v[48:49], s[14:15], v[50:51]
	s_mov_b32 s15, 0x3fe77f67
	s_mov_b32 s14, 0x5476071b
	v_add_f64 v[44:45], v[32:33], -v[44:45]
	v_add_f64 v[46:47], v[34:35], -v[46:47]
	;; [unrolled: 1-line block ×4, first 2 shown]
	v_add_f64 v[32:33], v[64:65], v[32:33]
	v_add_f64 v[34:35], v[66:67], v[34:35]
	v_mul_f64 v[64:65], v[68:69], s[2:3]
	v_mul_f64 v[66:67], v[70:71], s[2:3]
	s_mov_b32 s2, 0x429ad128
	v_fma_f64 v[50:51], v[60:61], s[14:15], -v[56:57]
	v_fma_f64 v[56:57], v[62:63], s[14:15], -v[58:59]
	s_mov_b32 s15, 0xbfe77f67
	s_mov_b32 s3, 0x3febfeb5
	v_fma_f64 v[36:37], s[0:1], v[36:37], v[52:53]
	v_fma_f64 v[58:59], v[62:63], s[14:15], -v[54:55]
	v_fmac_f64_e32 v[54:55], s[0:1], v[38:39]
	s_mov_b32 s1, 0x3fd5d0dc
	s_mov_b32 s0, 0xb247c609
	v_mul_f64 v[68:69], v[40:41], s[2:3]
	v_mul_f64 v[70:71], v[42:43], s[2:3]
	v_fma_f64 v[38:39], s[0:1], v[44:45], v[64:65]
	v_fma_f64 v[62:63], v[42:43], s[2:3], -v[66:67]
	v_fmac_f64_e32 v[66:67], s[0:1], v[46:47]
	s_mov_b32 s1, 0xbfd5d0dc
	v_fma_f64 v[52:53], v[60:61], s[14:15], -v[52:53]
	v_fma_f64 v[60:61], v[40:41], s[2:3], -v[64:65]
	;; [unrolled: 1-line block ×4, first 2 shown]
	s_mov_b32 s0, 0x37c3f68c
	s_mov_b32 s1, 0x3fdc38aa
	v_add_f64 v[70:71], v[54:55], v[48:49]
	v_add_f64 v[50:51], v[50:51], v[72:73]
	v_add_f64 v[54:55], v[56:57], v[48:49]
	v_add_f64 v[56:57], v[58:59], v[48:49]
	v_fmac_f64_e32 v[60:61], s[0:1], v[32:33]
	v_fmac_f64_e32 v[62:63], s[0:1], v[34:35]
	;; [unrolled: 1-line block ×3, first 2 shown]
	v_add_f64 v[52:53], v[52:53], v[72:73]
	v_fmac_f64_e32 v[68:69], s[0:1], v[34:35]
	v_add_f64 v[42:43], v[56:57], -v[64:65]
	v_add_f64 v[44:45], v[50:51], -v[62:63]
	v_add_f64 v[46:47], v[60:61], v[54:55]
	v_add_f64 v[48:49], v[50:51], v[62:63]
	v_add_f64 v[50:51], v[54:55], -v[60:61]
	v_add_f64 v[54:55], v[64:65], v[56:57]
	v_mul_lo_u16_e32 v56, 7, v132
	v_add_f64 v[36:37], v[36:37], v[72:73]
	v_fmac_f64_e32 v[38:39], s[0:1], v[32:33]
	v_fmac_f64_e32 v[66:67], s[0:1], v[34:35]
	v_add_f64 v[40:41], v[52:53], v[68:69]
	v_add_f64 v[52:53], v[52:53], -v[68:69]
	v_lshl_add_u32 v139, v56, 4, v138
	v_add_f64 v[32:33], v[36:37], v[66:67]
	v_add_f64 v[34:35], v[70:71], -v[38:39]
	v_add_f64 v[36:37], v[36:37], -v[66:67]
	v_add_f64 v[38:39], v[38:39], v[70:71]
	s_barrier
	ds_write_b128 v139, v[28:31]
	ds_write_b128 v139, v[32:35] offset:16
	ds_write_b128 v139, v[40:43] offset:32
	;; [unrolled: 1-line block ×6, first 2 shown]
	s_waitcnt lgkmcnt(0)
	s_barrier
	ds_read_b128 v[64:67], v135
	ds_read_b128 v[40:43], v135 offset:192
	ds_read_b128 v[68:71], v135 offset:672
	;; [unrolled: 1-line block ×5, first 2 shown]
                                        ; implicit-def: $vgpr72_vgpr73
	s_and_saveexec_b64 s[0:1], vcc
	s_cbranch_execz .LBB0_3
; %bb.2:
	ds_read_b128 v[36:39], v135 offset:576
	ds_read_b128 v[72:75], v135 offset:1248
.LBB0_3:
	s_or_b64 exec, exec, s[0:1]
	v_add_co_u32_e64 v141, s[0:1], 12, v132
	v_add_co_u32_e64 v28, s[0:1], -7, v132
	v_addc_co_u32_e64 v29, s[0:1], 0, -1, s[0:1]
	v_cmp_gt_u16_e64 s[0:1], 7, v132
	v_cndmask_b32_e64 v81, v29, 0, s[0:1]
	v_cndmask_b32_e64 v80, v28, v132, s[0:1]
	v_lshlrev_b64 v[28:29], 4, v[80:81]
	v_mov_b32_e32 v46, 37
	v_mov_b32_e32 v30, s11
	v_add_co_u32_e64 v44, s[0:1], s10, v28
	v_mul_lo_u16_sdwa v28, v141, v46 dst_sel:DWORD dst_unused:UNUSED_PAD src0_sel:BYTE_0 src1_sel:DWORD
	v_addc_co_u32_e64 v45, s[0:1], v30, v29, s[0:1]
	v_sub_u16_sdwa v29, v141, v28 dst_sel:DWORD dst_unused:UNUSED_PAD src0_sel:DWORD src1_sel:BYTE_1
	v_lshrrev_b16_e32 v29, 1, v29
	v_and_b32_e32 v29, 0x7f, v29
	v_add_u16_sdwa v28, v29, v28 dst_sel:DWORD dst_unused:UNUSED_PAD src0_sel:DWORD src1_sel:BYTE_1
	v_lshrrev_b16_e32 v79, 2, v28
	v_mul_lo_u16_e32 v28, 7, v79
	v_sub_u16_e32 v81, v141, v28
	v_mov_b32_e32 v47, 4
	v_lshlrev_b32_sdwa v48, v47, v81 dst_sel:DWORD dst_unused:UNUSED_PAD src0_sel:DWORD src1_sel:BYTE_0
	global_load_dwordx4 v[32:35], v[44:45], off
	global_load_dwordx4 v[28:31], v48, s[10:11]
	v_add_u16_e32 v44, 24, v132
	v_mul_lo_u16_sdwa v45, v44, v46 dst_sel:DWORD dst_unused:UNUSED_PAD src0_sel:BYTE_0 src1_sel:DWORD
	v_sub_u16_sdwa v48, v44, v45 dst_sel:DWORD dst_unused:UNUSED_PAD src0_sel:DWORD src1_sel:BYTE_1
	v_lshrrev_b16_e32 v48, 1, v48
	v_and_b32_e32 v48, 0x7f, v48
	v_add_u16_sdwa v45, v48, v45 dst_sel:DWORD dst_unused:UNUSED_PAD src0_sel:DWORD src1_sel:BYTE_1
	v_lshrrev_b16_e32 v84, 2, v45
	v_mul_lo_u16_e32 v45, 7, v84
	v_add_u16_e32 v48, 36, v132
	v_sub_u16_e32 v85, v44, v45
	v_mul_lo_u16_sdwa v45, v48, v46 dst_sel:DWORD dst_unused:UNUSED_PAD src0_sel:BYTE_0 src1_sel:DWORD
	v_sub_u16_sdwa v46, v48, v45 dst_sel:DWORD dst_unused:UNUSED_PAD src0_sel:DWORD src1_sel:BYTE_1
	v_lshrrev_b16_e32 v46, 1, v46
	v_and_b32_e32 v46, 0x7f, v46
	v_add_u16_sdwa v49, v46, v45 dst_sel:DWORD dst_unused:UNUSED_PAD src0_sel:DWORD src1_sel:BYTE_1
	v_lshrrev_b16_e32 v49, 2, v49
	v_mul_lo_u16_e32 v49, 7, v49
	v_sub_u16_e32 v140, v48, v49
	v_lshlrev_b32_sdwa v44, v47, v85 dst_sel:DWORD dst_unused:UNUSED_PAD src0_sel:DWORD src1_sel:BYTE_0
	v_and_b32_e32 v78, 0xff, v140
	global_load_dwordx4 v[44:47], v44, s[10:11]
	v_lshlrev_b32_e32 v48, 4, v78
	global_load_dwordx4 v[48:51], v48, s[10:11]
	v_cmp_lt_u16_e64 s[0:1], 6, v132
	v_cndmask_b32_e64 v82, 0, 14, s[0:1]
	v_add_u32_e32 v80, v80, v82
	v_lshl_add_u32 v142, v80, 4, v138
	v_mad_legacy_u16 v79, v79, 14, v81
	s_waitcnt lgkmcnt(0)
	s_barrier
	v_and_b32_e32 v79, 0xff, v79
	v_mov_b32_e32 v77, s9
	v_lshl_add_u32 v143, v79, 4, v138
	s_waitcnt vmcnt(3)
	v_mul_f64 v[82:83], v[68:69], v[34:35]
	v_mul_f64 v[80:81], v[70:71], v[34:35]
	v_fmac_f64_e32 v[82:83], v[70:71], v[32:33]
	v_fma_f64 v[68:69], v[68:69], v[32:33], -v[80:81]
	v_add_f64 v[70:71], v[66:67], -v[82:83]
	v_add_f64 v[68:69], v[64:65], -v[68:69]
	v_fma_f64 v[66:67], v[66:67], 2.0, -v[70:71]
	v_fma_f64 v[64:65], v[64:65], 2.0, -v[68:69]
	ds_write_b128 v142, v[68:71] offset:112
	ds_write_b128 v142, v[64:67]
	s_waitcnt vmcnt(2)
	v_mul_f64 v[66:67], v[60:61], v[30:31]
	v_mul_f64 v[64:65], v[62:63], v[30:31]
	v_fmac_f64_e32 v[66:67], v[62:63], v[28:29]
	v_fma_f64 v[60:61], v[60:61], v[28:29], -v[64:65]
	s_waitcnt vmcnt(1)
	v_mul_f64 v[68:69], v[58:59], v[46:47]
	v_mul_f64 v[70:71], v[56:57], v[46:47]
	v_fma_f64 v[62:63], v[56:57], v[44:45], -v[68:69]
	s_waitcnt vmcnt(0)
	v_mul_f64 v[56:57], v[74:75], v[50:51]
	v_fma_f64 v[68:69], v[72:73], v[48:49], -v[56:57]
	v_mul_f64 v[64:65], v[72:73], v[50:51]
	v_add_f64 v[88:89], v[36:37], -v[68:69]
	v_fmac_f64_e32 v[70:71], v[58:59], v[44:45]
	v_fmac_f64_e32 v[64:65], v[74:75], v[48:49]
	v_fma_f64 v[92:93], v[36:37], 2.0, -v[88:89]
	v_mad_legacy_u16 v36, v84, 14, v85
	v_add_f64 v[56:57], v[40:41], -v[60:61]
	v_add_f64 v[58:59], v[42:43], -v[66:67]
	;; [unrolled: 1-line block ×5, first 2 shown]
	v_and_b32_e32 v36, 0xff, v36
	v_fma_f64 v[40:41], v[40:41], 2.0, -v[56:57]
	v_fma_f64 v[42:43], v[42:43], 2.0, -v[58:59]
	;; [unrolled: 1-line block ×5, first 2 shown]
	v_lshl_add_u32 v144, v36, 4, v138
	ds_write_b128 v143, v[40:43]
	ds_write_b128 v143, v[56:59] offset:112
	ds_write_b128 v144, v[52:55]
	ds_write_b128 v144, v[60:63] offset:112
	s_and_saveexec_b64 s[0:1], vcc
	s_cbranch_execz .LBB0_5
; %bb.4:
	v_lshl_add_u32 v36, v78, 4, v138
	ds_write_b128 v36, v[92:95] offset:1120
	ds_write_b128 v36, v[88:91] offset:1232
.LBB0_5:
	s_or_b64 exec, exec, s[0:1]
	s_waitcnt lgkmcnt(0)
	s_barrier
	ds_read_b128 v[84:87], v135
	ds_read_b128 v[116:119], v135 offset:224
	ds_read_b128 v[112:115], v135 offset:448
	ds_read_b128 v[108:111], v135 offset:672
	ds_read_b128 v[104:107], v135 offset:896
	ds_read_b128 v[100:103], v135 offset:1120
	v_add_co_u32_e64 v136, s[0:1], s8, v76
	v_addc_co_u32_e64 v137, s[0:1], 0, v77, s[0:1]
	v_cmp_gt_u16_e64 s[0:1], 2, v132
                                        ; implicit-def: $vgpr96_vgpr97
                                        ; implicit-def: $vgpr120_vgpr121
                                        ; implicit-def: $vgpr124_vgpr125
                                        ; implicit-def: $vgpr128_vgpr129
	s_and_saveexec_b64 s[2:3], s[0:1]
	s_cbranch_execz .LBB0_7
; %bb.6:
	ds_read_b128 v[92:95], v135 offset:192
	ds_read_b128 v[88:91], v135 offset:416
	;; [unrolled: 1-line block ×6, first 2 shown]
.LBB0_7:
	s_or_b64 exec, exec, s[2:3]
	s_movk_i32 s2, 0x50
	v_pk_mov_b32 v[36:37], s[10:11], s[10:11] op_sel:[0,1]
	v_mad_u64_u32 v[36:37], s[2:3], v132, s2, v[36:37]
	global_load_dwordx4 v[76:79], v[36:37], off offset:112
	global_load_dwordx4 v[72:75], v[36:37], off offset:128
	;; [unrolled: 1-line block ×5, first 2 shown]
	v_add_u32_e32 v36, -2, v132
	v_cndmask_b32_e64 v36, v36, v141, s[0:1]
	v_mul_hi_i32_i24_e32 v38, 0x50, v36
	v_mul_i32_i24_e32 v36, 0x50, v36
	v_mov_b32_e32 v37, s11
	v_add_co_u32_e64 v60, s[2:3], s10, v36
	v_addc_co_u32_e64 v61, s[2:3], v37, v38, s[2:3]
	global_load_dwordx4 v[36:39], v[60:61], off offset:112
	global_load_dwordx4 v[56:59], v[60:61], off offset:128
	;; [unrolled: 1-line block ×4, first 2 shown]
	s_nop 0
	global_load_dwordx4 v[60:63], v[60:61], off offset:176
	s_mov_b32 s10, 0xe8584caa
	s_mov_b32 s11, 0x3febb67a
	;; [unrolled: 1-line block ×4, first 2 shown]
	v_lshl_add_u32 v141, v132, 4, v138
	s_waitcnt vmcnt(9) lgkmcnt(4)
	v_mul_f64 v[148:149], v[116:117], v[78:79]
	s_waitcnt vmcnt(8) lgkmcnt(3)
	v_mul_f64 v[152:153], v[112:113], v[74:75]
	v_mul_f64 v[150:151], v[114:115], v[74:75]
	s_waitcnt vmcnt(6) lgkmcnt(1)
	v_mul_f64 v[160:161], v[104:105], v[66:67]
	v_mul_f64 v[158:159], v[106:107], v[66:67]
	v_fmac_f64_e32 v[152:153], v[114:115], v[72:73]
	v_fmac_f64_e32 v[160:161], v[106:107], v[64:65]
	v_mul_f64 v[154:155], v[110:111], v[70:71]
	v_mul_f64 v[156:157], v[108:109], v[70:71]
	s_waitcnt vmcnt(5) lgkmcnt(0)
	v_mul_f64 v[162:163], v[102:103], v[82:83]
	v_fma_f64 v[112:113], v[112:113], v[72:73], -v[150:151]
	v_fma_f64 v[104:105], v[104:105], v[64:65], -v[158:159]
	v_add_f64 v[170:171], v[152:153], -v[160:161]
	v_add_f64 v[172:173], v[86:87], v[152:153]
	v_add_f64 v[152:153], v[152:153], v[160:161]
	v_mul_f64 v[146:147], v[118:119], v[78:79]
	v_mul_f64 v[164:165], v[100:101], v[82:83]
	v_fmac_f64_e32 v[148:149], v[118:119], v[76:77]
	v_fma_f64 v[108:109], v[108:109], v[68:69], -v[154:155]
	v_fmac_f64_e32 v[156:157], v[110:111], v[68:69]
	v_fma_f64 v[100:101], v[100:101], v[80:81], -v[162:163]
	s_waitcnt vmcnt(0)
	v_mul_f64 v[162:163], v[128:129], v[62:63]
	v_add_f64 v[166:167], v[84:85], v[112:113]
	v_add_f64 v[168:169], v[112:113], v[104:105]
	v_add_f64 v[112:113], v[112:113], -v[104:105]
	v_fmac_f64_e32 v[86:87], -0.5, v[152:153]
	v_fma_f64 v[146:147], v[116:117], v[76:77], -v[146:147]
	v_fmac_f64_e32 v[164:165], v[102:103], v[80:81]
	v_mul_f64 v[118:119], v[130:131], v[62:63]
	v_add_f64 v[176:177], v[108:109], v[100:101]
	v_fmac_f64_e32 v[162:163], v[130:131], v[60:61]
	v_fma_f64 v[130:131], s[2:3], v[112:113], v[86:87]
	v_fmac_f64_e32 v[86:87], s[10:11], v[112:113]
	v_add_f64 v[112:113], v[148:149], v[156:157]
	v_mul_f64 v[102:103], v[90:91], v[38:39]
	v_mul_f64 v[110:111], v[96:97], v[58:59]
	;; [unrolled: 1-line block ×3, first 2 shown]
	v_add_f64 v[174:175], v[146:147], v[108:109]
	v_add_f64 v[178:179], v[156:157], -v[164:165]
	v_fmac_f64_e32 v[146:147], -0.5, v[176:177]
	v_add_f64 v[152:153], v[112:113], v[164:165]
	v_add_f64 v[112:113], v[156:157], v[164:165]
	v_mul_f64 v[150:151], v[88:89], v[38:39]
	v_mul_f64 v[106:107], v[98:99], v[58:59]
	;; [unrolled: 1-line block ×3, first 2 shown]
	v_fma_f64 v[88:89], v[88:89], v[36:37], -v[102:103]
	v_fmac_f64_e32 v[110:111], v[98:99], v[56:57]
	v_fma_f64 v[98:99], v[124:125], v[52:53], -v[116:117]
	v_fma_f64 v[102:103], v[128:129], v[60:61], -v[118:119]
	v_add_f64 v[124:125], v[174:175], v[100:101]
	v_fma_f64 v[118:119], s[10:11], v[178:179], v[146:147]
	v_fmac_f64_e32 v[146:147], s[2:3], v[178:179]
	v_fmac_f64_e32 v[148:149], -0.5, v[112:113]
	v_add_f64 v[100:101], v[108:109], -v[100:101]
	v_fmac_f64_e32 v[150:151], v[90:91], v[36:37]
	v_fma_f64 v[90:91], v[96:97], v[56:57], -v[106:107]
	v_fmac_f64_e32 v[84:85], -0.5, v[168:169]
	v_add_f64 v[106:107], v[172:173], v[160:161]
	v_fma_f64 v[108:109], s[2:3], v[100:101], v[148:149]
	v_fmac_f64_e32 v[148:149], s[10:11], v[100:101]
	v_mul_f64 v[156:157], v[146:147], -0.5
	v_mul_f64 v[160:161], v[118:119], s[2:3]
	v_mul_f64 v[114:115], v[122:123], v[42:43]
	v_fmac_f64_e32 v[158:159], v[126:127], v[52:53]
	v_fma_f64 v[126:127], s[10:11], v[170:171], v[84:85]
	v_fmac_f64_e32 v[84:85], s[2:3], v[170:171]
	v_mul_f64 v[100:101], v[108:109], s[10:11]
	v_fmac_f64_e32 v[156:157], s[10:11], v[148:149]
	v_fmac_f64_e32 v[160:161], 0.5, v[108:109]
	v_mul_f64 v[108:109], v[148:149], -0.5
	v_mul_f64 v[154:155], v[120:121], v[42:43]
	v_fma_f64 v[96:97], v[120:121], v[40:41], -v[114:115]
	v_add_f64 v[104:105], v[166:167], v[104:105]
	v_add_f64 v[120:121], v[84:85], v[156:157]
	v_fmac_f64_e32 v[108:109], s[2:3], v[146:147]
	v_add_f64 v[146:147], v[84:85], -v[156:157]
	v_add_f64 v[84:85], v[92:93], v[90:91]
	v_add_f64 v[112:113], v[104:105], v[124:125]
	v_add_f64 v[124:125], v[104:105], -v[124:125]
	v_add_f64 v[104:105], v[84:85], v[98:99]
	v_add_f64 v[84:85], v[90:91], v[98:99]
	v_fmac_f64_e32 v[100:101], 0.5, v[118:119]
	v_fmac_f64_e32 v[92:93], -0.5, v[84:85]
	v_add_f64 v[84:85], v[110:111], -v[158:159]
	v_add_f64 v[116:117], v[126:127], v[100:101]
	v_add_f64 v[114:115], v[106:107], v[152:153]
	v_add_f64 v[128:129], v[126:127], -v[100:101]
	v_add_f64 v[126:127], v[106:107], -v[152:153]
	v_fma_f64 v[152:153], s[10:11], v[84:85], v[92:93]
	v_fmac_f64_e32 v[92:93], s[2:3], v[84:85]
	v_add_f64 v[84:85], v[94:95], v[110:111]
	v_add_f64 v[106:107], v[84:85], v[158:159]
	;; [unrolled: 1-line block ×3, first 2 shown]
	v_fmac_f64_e32 v[94:95], -0.5, v[84:85]
	v_add_f64 v[84:85], v[90:91], -v[98:99]
	v_fma_f64 v[98:99], s[2:3], v[84:85], v[94:95]
	v_fmac_f64_e32 v[94:95], s[10:11], v[84:85]
	v_add_f64 v[84:85], v[88:89], v[96:97]
	v_fmac_f64_e32 v[154:155], v[122:123], v[40:41]
	v_add_f64 v[122:123], v[86:87], v[108:109]
	v_add_f64 v[148:149], v[86:87], -v[108:109]
	v_add_f64 v[108:109], v[84:85], v[102:103]
	v_add_f64 v[84:85], v[96:97], v[102:103]
	v_fmac_f64_e32 v[88:89], -0.5, v[84:85]
	v_add_f64 v[84:85], v[154:155], -v[162:163]
	v_fma_f64 v[86:87], s[10:11], v[84:85], v[88:89]
	v_fmac_f64_e32 v[88:89], s[2:3], v[84:85]
	v_add_f64 v[84:85], v[150:151], v[154:155]
	v_add_f64 v[110:111], v[84:85], v[162:163]
	;; [unrolled: 1-line block ×3, first 2 shown]
	v_fmac_f64_e32 v[150:151], -0.5, v[84:85]
	v_add_f64 v[84:85], v[96:97], -v[102:103]
	v_fma_f64 v[90:91], s[2:3], v[84:85], v[150:151]
	v_fmac_f64_e32 v[150:151], s[10:11], v[84:85]
	v_mul_f64 v[154:155], v[88:89], -0.5
	v_mul_f64 v[96:97], v[90:91], s[10:11]
	v_fmac_f64_e32 v[154:155], s[10:11], v[150:151]
	v_mul_f64 v[156:157], v[86:87], s[2:3]
	v_mul_f64 v[150:151], v[150:151], -0.5
	v_fmac_f64_e32 v[96:97], 0.5, v[86:87]
	v_fmac_f64_e32 v[156:157], 0.5, v[90:91]
	v_fmac_f64_e32 v[150:151], s[2:3], v[88:89]
	v_add_f64 v[118:119], v[130:131], v[160:161]
	v_add_f64 v[100:101], v[152:153], v[96:97]
	v_add_f64 v[84:85], v[92:93], v[154:155]
	v_add_f64 v[102:103], v[98:99], v[156:157]
	v_add_f64 v[86:87], v[94:95], v[150:151]
	v_add_f64 v[88:89], v[104:105], -v[108:109]
	v_add_f64 v[96:97], v[152:153], -v[96:97]
	;; [unrolled: 1-line block ×7, first 2 shown]
	ds_write_b128 v135, v[112:115]
	ds_write_b128 v141, v[116:119] offset:224
	ds_write_b128 v141, v[120:123] offset:448
	;; [unrolled: 1-line block ×5, first 2 shown]
	s_and_saveexec_b64 s[2:3], s[0:1]
	s_cbranch_execz .LBB0_9
; %bb.8:
	v_add_f64 v[106:107], v[106:107], v[110:111]
	v_add_f64 v[104:105], v[104:105], v[108:109]
	ds_write_b128 v135, v[104:107] offset:192
	ds_write_b128 v141, v[100:103] offset:416
	;; [unrolled: 1-line block ×6, first 2 shown]
.LBB0_9:
	s_or_b64 exec, exec, s[2:3]
	s_waitcnt lgkmcnt(0)
	s_barrier
	global_load_dwordx4 v[104:107], v[136:137], off offset:1344
	s_add_u32 s2, s8, 0x540
	s_addc_u32 s3, s9, 0
	v_lshlrev_b32_e32 v128, 4, v132
	global_load_dwordx4 v[108:111], v128, s[2:3] offset:192
	global_load_dwordx4 v[112:115], v128, s[2:3] offset:384
	;; [unrolled: 1-line block ×5, first 2 shown]
	s_nop 0
	global_load_dwordx4 v[128:131], v128, s[2:3] offset:1152
	ds_read_b128 v[146:149], v135
	ds_read_b128 v[150:153], v135 offset:192
	ds_read_b128 v[154:157], v141 offset:576
	;; [unrolled: 1-line block ×6, first 2 shown]
	s_mov_b32 s2, 0x37e14327
	s_mov_b32 s3, 0x3fe948f6
	;; [unrolled: 1-line block ×6, first 2 shown]
	s_waitcnt vmcnt(6) lgkmcnt(6)
	v_mul_f64 v[136:137], v[148:149], v[106:107]
	v_mul_f64 v[176:177], v[146:147], v[106:107]
	v_fma_f64 v[174:175], v[146:147], v[104:105], -v[136:137]
	v_fmac_f64_e32 v[176:177], v[148:149], v[104:105]
	ds_write_b128 v135, v[174:177]
	s_waitcnt vmcnt(5) lgkmcnt(6)
	v_mul_f64 v[104:105], v[152:153], v[110:111]
	v_mul_f64 v[106:107], v[150:151], v[110:111]
	s_waitcnt vmcnt(4) lgkmcnt(4)
	v_mul_f64 v[136:137], v[160:161], v[114:115]
	v_mul_f64 v[110:111], v[158:159], v[114:115]
	s_waitcnt vmcnt(3)
	v_mul_f64 v[146:147], v[156:157], v[118:119]
	v_mul_f64 v[114:115], v[154:155], v[118:119]
	s_waitcnt vmcnt(2) lgkmcnt(3)
	v_mul_f64 v[148:149], v[164:165], v[122:123]
	v_mul_f64 v[118:119], v[162:163], v[122:123]
	s_waitcnt vmcnt(1) lgkmcnt(2)
	;; [unrolled: 3-line block ×3, first 2 shown]
	v_mul_f64 v[176:177], v[172:173], v[130:131]
	v_mul_f64 v[126:127], v[170:171], v[130:131]
	v_fma_f64 v[104:105], v[150:151], v[108:109], -v[104:105]
	v_fmac_f64_e32 v[106:107], v[152:153], v[108:109]
	v_fma_f64 v[108:109], v[158:159], v[112:113], -v[136:137]
	v_fmac_f64_e32 v[110:111], v[160:161], v[112:113]
	;; [unrolled: 2-line block ×6, first 2 shown]
	ds_write_b128 v135, v[104:107] offset:192
	ds_write_b128 v135, v[108:111] offset:384
	;; [unrolled: 1-line block ×6, first 2 shown]
	s_waitcnt lgkmcnt(0)
	s_barrier
	ds_read_b128 v[104:107], v135
	ds_read_b128 v[108:111], v135 offset:192
	ds_read_b128 v[112:115], v135 offset:1152
	;; [unrolled: 1-line block ×6, first 2 shown]
	s_waitcnt lgkmcnt(4)
	v_add_f64 v[136:137], v[108:109], v[112:113]
	v_add_f64 v[108:109], v[108:109], -v[112:113]
	v_add_f64 v[146:147], v[110:111], v[114:115]
	s_waitcnt lgkmcnt(1)
	v_add_f64 v[112:113], v[124:125], v[116:117]
	v_add_f64 v[110:111], v[110:111], -v[114:115]
	v_add_f64 v[114:115], v[126:127], v[118:119]
	v_add_f64 v[116:117], v[124:125], -v[116:117]
	s_waitcnt lgkmcnt(0)
	v_add_f64 v[124:125], v[120:121], v[128:129]
	v_add_f64 v[120:121], v[128:129], -v[120:121]
	v_add_f64 v[128:129], v[112:113], v[136:137]
	v_add_f64 v[118:119], v[126:127], -v[118:119]
	;; [unrolled: 2-line block ×4, first 2 shown]
	v_add_f64 v[136:137], v[136:137], -v[124:125]
	v_add_f64 v[112:113], v[124:125], -v[112:113]
	v_add_f64 v[152:153], v[120:121], v[116:117]
	v_add_f64 v[124:125], v[124:125], v[128:129]
	v_add_f64 v[150:151], v[114:115], -v[146:147]
	v_add_f64 v[146:147], v[146:147], -v[126:127]
	;; [unrolled: 1-line block ×3, first 2 shown]
	v_add_f64 v[154:155], v[122:123], v[118:119]
	v_add_f64 v[156:157], v[120:121], -v[116:117]
	v_add_f64 v[120:121], v[108:109], -v[120:121]
	;; [unrolled: 1-line block ×3, first 2 shown]
	v_add_f64 v[126:127], v[126:127], v[130:131]
	v_add_f64 v[128:129], v[152:153], v[108:109]
	;; [unrolled: 1-line block ×3, first 2 shown]
	v_add_f64 v[158:159], v[122:123], -v[118:119]
	v_add_f64 v[122:123], v[110:111], -v[122:123]
	v_add_f64 v[118:119], v[118:119], -v[110:111]
	v_add_f64 v[130:131], v[154:155], v[110:111]
	v_add_f64 v[110:111], v[106:107], v[126:127]
	v_mul_f64 v[104:105], v[136:137], s[2:3]
	v_mul_f64 v[106:107], v[146:147], s[2:3]
	s_mov_b32 s2, 0x36b3c0b5
	v_pk_mov_b32 v[160:161], v[108:109], v[108:109] op_sel:[0,1]
	s_mov_b32 s3, 0x3fac98ee
	v_fmac_f64_e32 v[160:161], s[10:11], v[124:125]
	v_pk_mov_b32 v[124:125], v[110:111], v[110:111] op_sel:[0,1]
	v_mul_f64 v[136:137], v[112:113], s[2:3]
	v_mul_f64 v[146:147], v[114:115], s[2:3]
	v_fmac_f64_e32 v[124:125], s[10:11], v[126:127]
	s_mov_b32 s11, 0x3fe77f67
	s_mov_b32 s10, 0x5476071b
	v_mul_f64 v[152:153], v[156:157], s[8:9]
	v_mul_f64 v[154:155], v[158:159], s[8:9]
	s_mov_b32 s8, 0x429ad128
	v_fma_f64 v[126:127], v[148:149], s[10:11], -v[136:137]
	v_fma_f64 v[136:137], v[150:151], s[10:11], -v[146:147]
	s_mov_b32 s11, 0xbfe77f67
	s_mov_b32 s9, 0xbfebfeb5
	v_fma_f64 v[112:113], s[2:3], v[112:113], v[104:105]
	v_fma_f64 v[146:147], v[150:151], s[10:11], -v[106:107]
	v_fmac_f64_e32 v[106:107], s[2:3], v[114:115]
	s_mov_b32 s3, 0xbfd5d0dc
	s_mov_b32 s2, 0xb247c609
	v_mul_f64 v[156:157], v[116:117], s[8:9]
	v_mul_f64 v[158:159], v[118:119], s[8:9]
	v_fma_f64 v[104:105], v[148:149], s[10:11], -v[104:105]
	v_fma_f64 v[148:149], s[2:3], v[120:121], v[152:153]
	v_fma_f64 v[150:151], v[116:117], s[8:9], -v[152:153]
	v_fma_f64 v[152:153], v[118:119], s[8:9], -v[154:155]
	v_fmac_f64_e32 v[154:155], s[2:3], v[122:123]
	s_mov_b32 s3, 0x3fd5d0dc
	v_fma_f64 v[156:157], v[120:121], s[2:3], -v[156:157]
	v_fma_f64 v[158:159], v[122:123], s[2:3], -v[158:159]
	s_mov_b32 s2, 0x37c3f68c
	s_mov_b32 s3, 0xbfdc38aa
	v_add_f64 v[162:163], v[112:113], v[160:161]
	v_add_f64 v[106:107], v[106:107], v[124:125]
	;; [unrolled: 1-line block ×6, first 2 shown]
	v_fmac_f64_e32 v[148:149], s[2:3], v[128:129]
	v_fmac_f64_e32 v[154:155], s[2:3], v[130:131]
	;; [unrolled: 1-line block ×6, first 2 shown]
	v_add_f64 v[112:113], v[162:163], v[154:155]
	v_add_f64 v[114:115], v[106:107], -v[148:149]
	v_add_f64 v[116:117], v[104:105], v[158:159]
	v_add_f64 v[118:119], v[146:147], -v[156:157]
	v_add_f64 v[120:121], v[126:127], -v[152:153]
	v_add_f64 v[122:123], v[150:151], v[136:137]
	v_add_f64 v[124:125], v[126:127], v[152:153]
	v_add_f64 v[126:127], v[136:137], -v[150:151]
	v_add_f64 v[128:129], v[104:105], -v[158:159]
	v_add_f64 v[130:131], v[156:157], v[146:147]
	v_add_f64 v[104:105], v[162:163], -v[154:155]
	v_add_f64 v[106:107], v[148:149], v[106:107]
	s_barrier
	ds_write_b128 v139, v[108:111]
	ds_write_b128 v139, v[112:115] offset:16
	ds_write_b128 v139, v[116:119] offset:32
	;; [unrolled: 1-line block ×6, first 2 shown]
	s_waitcnt lgkmcnt(0)
	s_barrier
	ds_read_b128 v[116:119], v135
	ds_read_b128 v[112:115], v135 offset:192
	ds_read_b128 v[128:131], v135 offset:672
	;; [unrolled: 1-line block ×5, first 2 shown]
	s_and_saveexec_b64 s[2:3], vcc
	s_cbranch_execz .LBB0_11
; %bb.10:
	ds_read_b128 v[104:107], v141 offset:576
	ds_read_b128 v[100:103], v135 offset:1248
.LBB0_11:
	s_or_b64 exec, exec, s[2:3]
	s_waitcnt lgkmcnt(3)
	v_mul_f64 v[136:137], v[34:35], v[130:131]
	v_mul_f64 v[34:35], v[34:35], v[128:129]
	v_fmac_f64_e32 v[136:137], v[32:33], v[128:129]
	v_fma_f64 v[32:33], v[32:33], v[130:131], -v[34:35]
	s_waitcnt lgkmcnt(1)
	v_mul_f64 v[34:35], v[30:31], v[126:127]
	v_mul_f64 v[30:31], v[30:31], v[124:125]
	v_fmac_f64_e32 v[34:35], v[28:29], v[124:125]
	v_fma_f64 v[28:29], v[28:29], v[126:127], -v[30:31]
	;; [unrolled: 5-line block ×3, first 2 shown]
	v_mul_f64 v[122:123], v[50:51], v[102:103]
	v_mul_f64 v[44:45], v[50:51], v[100:101]
	v_fmac_f64_e32 v[122:123], v[48:49], v[100:101]
	v_fma_f64 v[124:125], v[48:49], v[102:103], -v[44:45]
	v_add_f64 v[44:45], v[116:117], -v[136:137]
	v_add_f64 v[46:47], v[118:119], -v[32:33]
	;; [unrolled: 1-line block ×5, first 2 shown]
	v_fma_f64 v[48:49], v[116:117], 2.0, -v[44:45]
	v_fma_f64 v[50:51], v[118:119], 2.0, -v[46:47]
	v_add_f64 v[102:103], v[114:115], -v[28:29]
	v_add_f64 v[116:117], v[108:109], -v[30:31]
	;; [unrolled: 1-line block ×3, first 2 shown]
	v_fma_f64 v[28:29], v[104:105], 2.0, -v[32:33]
	v_fma_f64 v[30:31], v[106:107], 2.0, -v[34:35]
	;; [unrolled: 1-line block ×6, first 2 shown]
	s_barrier
	ds_write_b128 v142, v[48:51]
	ds_write_b128 v142, v[44:47] offset:112
	ds_write_b128 v143, v[112:115]
	ds_write_b128 v143, v[100:103] offset:112
	;; [unrolled: 2-line block ×3, first 2 shown]
	s_and_saveexec_b64 s[2:3], vcc
	s_cbranch_execz .LBB0_13
; %bb.12:
	v_and_b32_e32 v44, 0xff, v140
	v_lshl_add_u32 v44, v44, 4, v138
	ds_write_b128 v44, v[28:31] offset:1120
	ds_write_b128 v44, v[32:35] offset:1232
.LBB0_13:
	s_or_b64 exec, exec, s[2:3]
	s_waitcnt lgkmcnt(0)
	s_barrier
	ds_read_b128 v[44:47], v135
	ds_read_b128 v[112:115], v135 offset:224
	ds_read_b128 v[108:111], v135 offset:448
	;; [unrolled: 1-line block ×5, first 2 shown]
	s_and_saveexec_b64 s[2:3], s[0:1]
	s_cbranch_execz .LBB0_15
; %bb.14:
	ds_read_b128 v[28:31], v135 offset:192
	ds_read_b128 v[32:35], v135 offset:416
	;; [unrolled: 1-line block ×6, first 2 shown]
.LBB0_15:
	s_or_b64 exec, exec, s[2:3]
	s_waitcnt lgkmcnt(4)
	v_mul_f64 v[116:117], v[78:79], v[114:115]
	v_mul_f64 v[78:79], v[78:79], v[112:113]
	v_fmac_f64_e32 v[116:117], v[76:77], v[112:113]
	v_fma_f64 v[76:77], v[76:77], v[114:115], -v[78:79]
	s_waitcnt lgkmcnt(3)
	v_mul_f64 v[78:79], v[74:75], v[110:111]
	v_mul_f64 v[74:75], v[74:75], v[108:109]
	v_fmac_f64_e32 v[78:79], v[72:73], v[108:109]
	v_fma_f64 v[72:73], v[72:73], v[110:111], -v[74:75]
	;; [unrolled: 5-line block ×4, first 2 shown]
	s_waitcnt lgkmcnt(0)
	v_mul_f64 v[66:67], v[82:83], v[50:51]
	v_fmac_f64_e32 v[66:67], v[80:81], v[48:49]
	v_mul_f64 v[48:49], v[82:83], v[48:49]
	v_fma_f64 v[48:49], v[80:81], v[50:51], -v[48:49]
	v_add_f64 v[50:51], v[44:45], v[78:79]
	v_add_f64 v[80:81], v[50:51], v[70:71]
	v_add_f64 v[50:51], v[78:79], v[70:71]
	s_mov_b32 s2, 0xe8584caa
	v_fmac_f64_e32 v[44:45], -0.5, v[50:51]
	v_add_f64 v[50:51], v[72:73], -v[64:65]
	s_mov_b32 s3, 0xbfebb67a
	s_mov_b32 s9, 0x3febb67a
	;; [unrolled: 1-line block ×3, first 2 shown]
	v_fma_f64 v[82:83], s[2:3], v[50:51], v[44:45]
	v_fmac_f64_e32 v[44:45], s[8:9], v[50:51]
	v_add_f64 v[50:51], v[46:47], v[72:73]
	v_add_f64 v[100:101], v[50:51], v[64:65]
	v_add_f64 v[50:51], v[72:73], v[64:65]
	v_fmac_f64_e32 v[46:47], -0.5, v[50:51]
	v_add_f64 v[50:51], v[78:79], -v[70:71]
	v_fma_f64 v[78:79], s[8:9], v[50:51], v[46:47]
	v_fmac_f64_e32 v[46:47], s[2:3], v[50:51]
	v_add_f64 v[50:51], v[116:117], v[74:75]
	v_add_f64 v[72:73], v[50:51], v[66:67]
	v_add_f64 v[50:51], v[74:75], v[66:67]
	v_fmac_f64_e32 v[116:117], -0.5, v[50:51]
	v_add_f64 v[50:51], v[68:69], -v[48:49]
	;; [unrolled: 7-line block ×3, first 2 shown]
	v_fma_f64 v[66:67], s[8:9], v[48:49], v[76:77]
	v_fmac_f64_e32 v[76:77], s[2:3], v[48:49]
	v_mul_f64 v[74:75], v[66:67], s[2:3]
	v_mul_f64 v[104:105], v[76:77], s[2:3]
	v_mul_f64 v[106:107], v[66:67], 0.5
	v_mul_f64 v[108:109], v[76:77], -0.5
	v_add_f64 v[48:49], v[80:81], v[72:73]
	v_fmac_f64_e32 v[74:75], 0.5, v[70:71]
	v_fmac_f64_e32 v[104:105], -0.5, v[116:117]
	v_add_f64 v[50:51], v[100:101], v[102:103]
	v_fmac_f64_e32 v[106:107], s[8:9], v[70:71]
	v_fmac_f64_e32 v[108:109], s[8:9], v[116:117]
	v_add_f64 v[64:65], v[82:83], v[74:75]
	v_add_f64 v[68:69], v[44:45], v[104:105]
	;; [unrolled: 1-line block ×4, first 2 shown]
	v_add_f64 v[72:73], v[80:81], -v[72:73]
	v_add_f64 v[76:77], v[82:83], -v[74:75]
	;; [unrolled: 1-line block ×6, first 2 shown]
	ds_write_b128 v135, v[48:51]
	ds_write_b128 v141, v[64:67] offset:224
	ds_write_b128 v141, v[68:71] offset:448
	;; [unrolled: 1-line block ×5, first 2 shown]
	s_and_saveexec_b64 s[10:11], s[0:1]
	s_cbranch_execz .LBB0_17
; %bb.16:
	v_mul_f64 v[64:65], v[42:43], v[90:91]
	v_mul_f64 v[42:43], v[42:43], v[88:89]
	;; [unrolled: 1-line block ×6, first 2 shown]
	v_fmac_f64_e32 v[64:65], v[40:41], v[88:89]
	v_mul_f64 v[66:67], v[62:63], v[94:95]
	v_fma_f64 v[40:41], v[40:41], v[90:91], -v[42:43]
	v_mul_f64 v[42:43], v[62:63], v[92:93]
	v_fma_f64 v[44:45], v[56:57], v[86:87], -v[44:45]
	v_fma_f64 v[46:47], v[52:53], v[98:99], -v[46:47]
	v_fmac_f64_e32 v[58:59], v[36:37], v[32:33]
	v_fmac_f64_e32 v[66:67], v[60:61], v[92:93]
	v_fma_f64 v[42:43], v[60:61], v[94:95], -v[42:43]
	v_mul_f64 v[32:33], v[38:39], v[32:33]
	v_add_f64 v[48:49], v[44:45], v[46:47]
	v_add_f64 v[68:69], v[64:65], v[66:67]
	v_fma_f64 v[34:35], v[36:37], v[34:35], -v[32:33]
	v_add_f64 v[32:33], v[40:41], v[42:43]
	v_fma_f64 v[48:49], -0.5, v[48:49], v[30:31]
	v_mul_f64 v[54:55], v[54:55], v[98:99]
	v_fma_f64 v[68:69], -0.5, v[68:69], v[58:59]
	v_add_f64 v[60:61], v[40:41], -v[42:43]
	v_fma_f64 v[38:39], -0.5, v[32:33], v[34:35]
	v_add_f64 v[36:37], v[64:65], -v[66:67]
	v_add_f64 v[30:31], v[30:31], v[44:45]
	v_fmac_f64_e32 v[50:51], v[56:57], v[84:85]
	v_fmac_f64_e32 v[54:55], v[52:53], v[96:97]
	v_fma_f64 v[62:63], s[8:9], v[60:61], v[68:69]
	v_fma_f64 v[70:71], s[2:3], v[36:37], v[38:39]
	v_fmac_f64_e32 v[68:69], s[2:3], v[60:61]
	v_add_f64 v[60:61], v[30:31], v[46:47]
	v_add_f64 v[30:31], v[34:35], v[40:41]
	v_add_f64 v[52:53], v[50:51], -v[54:55]
	v_mul_f64 v[72:73], v[70:71], -0.5
	v_fmac_f64_e32 v[38:39], s[8:9], v[36:37]
	v_add_f64 v[42:43], v[30:31], v[42:43]
	v_add_f64 v[30:31], v[50:51], v[54:55]
	v_mul_f64 v[70:71], v[70:71], s[2:3]
	v_fma_f64 v[56:57], s[2:3], v[52:53], v[48:49]
	v_fmac_f64_e32 v[72:73], s[8:9], v[62:63]
	v_fmac_f64_e32 v[48:49], s[8:9], v[52:53]
	v_mul_f64 v[52:53], v[38:39], 0.5
	v_fma_f64 v[74:75], -0.5, v[30:31], v[28:29]
	v_fmac_f64_e32 v[70:71], -0.5, v[62:63]
	v_mul_f64 v[62:63], v[38:39], s[2:3]
	v_add_f64 v[28:29], v[28:29], v[50:51]
	v_add_f64 v[38:39], v[58:59], v[64:65]
	v_fmac_f64_e32 v[52:53], s[8:9], v[68:69]
	v_add_f64 v[34:35], v[44:45], -v[46:47]
	v_add_f64 v[28:29], v[28:29], v[54:55]
	v_add_f64 v[50:51], v[38:39], v[66:67]
	v_add_f64 v[36:37], v[48:49], -v[52:53]
	v_fma_f64 v[46:47], s[8:9], v[34:35], v[74:75]
	v_fmac_f64_e32 v[74:75], s[2:3], v[34:35]
	v_fmac_f64_e32 v[62:63], 0.5, v[68:69]
	v_add_f64 v[38:39], v[28:29], -v[50:51]
	v_add_f64 v[48:49], v[48:49], v[52:53]
	v_add_f64 v[52:53], v[60:61], v[42:43]
	;; [unrolled: 1-line block ×3, first 2 shown]
	v_add_f64 v[32:33], v[56:57], -v[72:73]
	v_add_f64 v[40:41], v[60:61], -v[42:43]
	;; [unrolled: 1-line block ×4, first 2 shown]
	v_add_f64 v[44:45], v[56:57], v[72:73]
	v_add_f64 v[42:43], v[46:47], v[70:71]
	;; [unrolled: 1-line block ×3, first 2 shown]
	ds_write_b128 v135, v[50:53] offset:192
	ds_write_b128 v141, v[46:49] offset:416
	;; [unrolled: 1-line block ×6, first 2 shown]
.LBB0_17:
	s_or_b64 exec, exec, s[10:11]
	s_waitcnt lgkmcnt(0)
	s_barrier
	ds_read_b128 v[28:31], v135
	v_mad_u64_u32 v[40:41], s[0:1], s6, v134, 0
	v_mov_b32_e32 v32, v41
	v_mad_u64_u32 v[32:33], s[0:1], s7, v134, v[32:33]
	v_mov_b32_e32 v41, v32
	ds_read_b128 v[32:35], v135 offset:192
	s_waitcnt lgkmcnt(1)
	v_mul_f64 v[36:37], v[26:27], v[30:31]
	s_mov_b32 s0, 0x18618618
	v_mul_f64 v[26:27], v[26:27], v[28:29]
	v_fmac_f64_e32 v[36:37], v[24:25], v[28:29]
	s_mov_b32 s1, 0x3f886186
	v_fma_f64 v[24:25], v[24:25], v[30:31], -v[26:27]
	v_mul_f64 v[38:39], v[24:25], s[0:1]
	v_mad_u64_u32 v[24:25], s[2:3], s4, v132, 0
	v_mov_b32_e32 v26, v25
	v_mad_u64_u32 v[26:27], s[2:3], s5, v132, v[26:27]
	v_mov_b32_e32 v25, v26
	v_lshlrev_b64 v[26:27], 4, v[40:41]
	v_mov_b32_e32 v28, s13
	v_add_co_u32_e32 v40, vcc, s12, v26
	v_addc_co_u32_e32 v41, vcc, v28, v27, vcc
	v_lshlrev_b64 v[24:25], 4, v[24:25]
	v_add_co_u32_e32 v28, vcc, v40, v24
	v_addc_co_u32_e32 v29, vcc, v41, v25, vcc
	s_waitcnt lgkmcnt(0)
	v_mul_f64 v[24:25], v[22:23], v[34:35]
	v_mul_f64 v[22:23], v[22:23], v[32:33]
	v_fmac_f64_e32 v[24:25], v[20:21], v[32:33]
	v_fma_f64 v[20:21], v[20:21], v[34:35], -v[22:23]
	v_mul_f64 v[26:27], v[20:21], s[0:1]
	ds_read_b128 v[20:23], v135 offset:384
	v_mov_b32_e32 v34, 0xc0
	v_mad_u64_u32 v[32:33], s[2:3], s4, v34, v[28:29]
	s_mul_i32 s6, s5, 0xc0
	v_mul_f64 v[36:37], v[36:37], s[0:1]
	v_mul_f64 v[24:25], v[24:25], s[0:1]
	v_add_u32_e32 v33, s6, v33
	global_store_dwordx4 v[28:29], v[36:39], off
	global_store_dwordx4 v[32:33], v[24:27], off
	ds_read_b128 v[24:27], v135 offset:768
	s_waitcnt lgkmcnt(1)
	v_mul_f64 v[28:29], v[18:19], v[22:23]
	v_mul_f64 v[18:19], v[18:19], v[20:21]
	v_fmac_f64_e32 v[28:29], v[16:17], v[20:21]
	v_fma_f64 v[16:17], v[16:17], v[22:23], -v[18:19]
	v_mul_f64 v[30:31], v[16:17], s[0:1]
	ds_read_b128 v[16:19], v141 offset:576
	v_mad_u64_u32 v[32:33], s[2:3], s4, v34, v[32:33]
	v_mul_f64 v[28:29], v[28:29], s[0:1]
	v_add_u32_e32 v33, s6, v33
	s_waitcnt lgkmcnt(0)
	v_mul_f64 v[20:21], v[14:15], v[18:19]
	v_mul_f64 v[14:15], v[14:15], v[16:17]
	v_fmac_f64_e32 v[20:21], v[12:13], v[16:17]
	v_fma_f64 v[12:13], v[12:13], v[18:19], -v[14:15]
	v_mul_f64 v[22:23], v[12:13], s[0:1]
	v_mul_f64 v[12:13], v[6:7], v[26:27]
	;; [unrolled: 1-line block ×3, first 2 shown]
	v_fmac_f64_e32 v[12:13], v[4:5], v[24:25]
	v_fma_f64 v[4:5], v[4:5], v[26:27], -v[6:7]
	v_mul_f64 v[14:15], v[4:5], s[0:1]
	v_mad_u64_u32 v[4:5], s[2:3], s4, v133, 0
	v_mov_b32_e32 v6, v5
	v_mad_u64_u32 v[6:7], s[2:3], s5, v133, v[6:7]
	v_mov_b32_e32 v5, v6
	v_lshlrev_b64 v[16:17], 4, v[4:5]
	ds_read_b128 v[4:7], v135 offset:960
	global_store_dwordx4 v[32:33], v[28:31], off
	v_add_co_u32_e32 v16, vcc, v40, v16
	v_mad_u64_u32 v[28:29], s[2:3], s4, v34, v[32:33]
	v_mul_f64 v[20:21], v[20:21], s[0:1]
	v_add_u32_e32 v29, s6, v29
	v_mul_f64 v[12:13], v[12:13], s[0:1]
	v_addc_co_u32_e32 v17, vcc, v41, v17, vcc
	global_store_dwordx4 v[28:29], v[20:23], off
	global_store_dwordx4 v[16:17], v[12:15], off
	ds_read_b128 v[12:15], v135 offset:1152
	s_waitcnt lgkmcnt(1)
	v_mul_f64 v[16:17], v[2:3], v[6:7]
	v_mul_f64 v[2:3], v[2:3], v[4:5]
	v_fmac_f64_e32 v[16:17], v[0:1], v[4:5]
	v_fma_f64 v[0:1], v[0:1], v[6:7], -v[2:3]
	v_mul_f64 v[18:19], v[0:1], s[0:1]
	v_mov_b32_e32 v0, 0x180
	v_mad_u64_u32 v[4:5], s[2:3], s4, v0, v[28:29]
	s_mul_i32 s2, s5, 0x180
	s_waitcnt lgkmcnt(0)
	v_mul_f64 v[0:1], v[10:11], v[14:15]
	v_mul_f64 v[2:3], v[10:11], v[12:13]
	;; [unrolled: 1-line block ×3, first 2 shown]
	v_add_u32_e32 v5, s2, v5
	v_fmac_f64_e32 v[0:1], v[8:9], v[12:13]
	v_fma_f64 v[2:3], v[8:9], v[14:15], -v[2:3]
	global_store_dwordx4 v[4:5], v[16:19], off
	v_mul_f64 v[0:1], v[0:1], s[0:1]
	v_mul_f64 v[2:3], v[2:3], s[0:1]
	v_mad_u64_u32 v[4:5], s[0:1], s4, v34, v[4:5]
	v_add_u32_e32 v5, s6, v5
	global_store_dwordx4 v[4:5], v[0:3], off
.LBB0_18:
	s_endpgm
	.section	.rodata,"a",@progbits
	.p2align	6, 0x0
	.amdhsa_kernel bluestein_single_back_len84_dim1_dp_op_CI_CI
		.amdhsa_group_segment_fixed_size 13440
		.amdhsa_private_segment_fixed_size 0
		.amdhsa_kernarg_size 104
		.amdhsa_user_sgpr_count 6
		.amdhsa_user_sgpr_private_segment_buffer 1
		.amdhsa_user_sgpr_dispatch_ptr 0
		.amdhsa_user_sgpr_queue_ptr 0
		.amdhsa_user_sgpr_kernarg_segment_ptr 1
		.amdhsa_user_sgpr_dispatch_id 0
		.amdhsa_user_sgpr_flat_scratch_init 0
		.amdhsa_user_sgpr_kernarg_preload_length 0
		.amdhsa_user_sgpr_kernarg_preload_offset 0
		.amdhsa_user_sgpr_private_segment_size 0
		.amdhsa_uses_dynamic_stack 0
		.amdhsa_system_sgpr_private_segment_wavefront_offset 0
		.amdhsa_system_sgpr_workgroup_id_x 1
		.amdhsa_system_sgpr_workgroup_id_y 0
		.amdhsa_system_sgpr_workgroup_id_z 0
		.amdhsa_system_sgpr_workgroup_info 0
		.amdhsa_system_vgpr_workitem_id 0
		.amdhsa_next_free_vgpr 180
		.amdhsa_next_free_sgpr 20
		.amdhsa_accum_offset 180
		.amdhsa_reserve_vcc 1
		.amdhsa_reserve_flat_scratch 0
		.amdhsa_float_round_mode_32 0
		.amdhsa_float_round_mode_16_64 0
		.amdhsa_float_denorm_mode_32 3
		.amdhsa_float_denorm_mode_16_64 3
		.amdhsa_dx10_clamp 1
		.amdhsa_ieee_mode 1
		.amdhsa_fp16_overflow 0
		.amdhsa_tg_split 0
		.amdhsa_exception_fp_ieee_invalid_op 0
		.amdhsa_exception_fp_denorm_src 0
		.amdhsa_exception_fp_ieee_div_zero 0
		.amdhsa_exception_fp_ieee_overflow 0
		.amdhsa_exception_fp_ieee_underflow 0
		.amdhsa_exception_fp_ieee_inexact 0
		.amdhsa_exception_int_div_zero 0
	.end_amdhsa_kernel
	.text
.Lfunc_end0:
	.size	bluestein_single_back_len84_dim1_dp_op_CI_CI, .Lfunc_end0-bluestein_single_back_len84_dim1_dp_op_CI_CI
                                        ; -- End function
	.section	.AMDGPU.csdata,"",@progbits
; Kernel info:
; codeLenInByte = 7564
; NumSgprs: 24
; NumVgprs: 180
; NumAgprs: 0
; TotalNumVgprs: 180
; ScratchSize: 0
; MemoryBound: 0
; FloatMode: 240
; IeeeMode: 1
; LDSByteSize: 13440 bytes/workgroup (compile time only)
; SGPRBlocks: 2
; VGPRBlocks: 22
; NumSGPRsForWavesPerEU: 24
; NumVGPRsForWavesPerEU: 180
; AccumOffset: 180
; Occupancy: 2
; WaveLimiterHint : 1
; COMPUTE_PGM_RSRC2:SCRATCH_EN: 0
; COMPUTE_PGM_RSRC2:USER_SGPR: 6
; COMPUTE_PGM_RSRC2:TRAP_HANDLER: 0
; COMPUTE_PGM_RSRC2:TGID_X_EN: 1
; COMPUTE_PGM_RSRC2:TGID_Y_EN: 0
; COMPUTE_PGM_RSRC2:TGID_Z_EN: 0
; COMPUTE_PGM_RSRC2:TIDIG_COMP_CNT: 0
; COMPUTE_PGM_RSRC3_GFX90A:ACCUM_OFFSET: 44
; COMPUTE_PGM_RSRC3_GFX90A:TG_SPLIT: 0
	.text
	.p2alignl 6, 3212836864
	.fill 256, 4, 3212836864
	.type	__hip_cuid_ab2e848578147fa2,@object ; @__hip_cuid_ab2e848578147fa2
	.section	.bss,"aw",@nobits
	.globl	__hip_cuid_ab2e848578147fa2
__hip_cuid_ab2e848578147fa2:
	.byte	0                               ; 0x0
	.size	__hip_cuid_ab2e848578147fa2, 1

	.ident	"AMD clang version 19.0.0git (https://github.com/RadeonOpenCompute/llvm-project roc-6.4.0 25133 c7fe45cf4b819c5991fe208aaa96edf142730f1d)"
	.section	".note.GNU-stack","",@progbits
	.addrsig
	.addrsig_sym __hip_cuid_ab2e848578147fa2
	.amdgpu_metadata
---
amdhsa.kernels:
  - .agpr_count:     0
    .args:
      - .actual_access:  read_only
        .address_space:  global
        .offset:         0
        .size:           8
        .value_kind:     global_buffer
      - .actual_access:  read_only
        .address_space:  global
        .offset:         8
        .size:           8
        .value_kind:     global_buffer
      - .actual_access:  read_only
        .address_space:  global
        .offset:         16
        .size:           8
        .value_kind:     global_buffer
      - .actual_access:  read_only
        .address_space:  global
        .offset:         24
        .size:           8
        .value_kind:     global_buffer
      - .actual_access:  read_only
        .address_space:  global
        .offset:         32
        .size:           8
        .value_kind:     global_buffer
      - .offset:         40
        .size:           8
        .value_kind:     by_value
      - .address_space:  global
        .offset:         48
        .size:           8
        .value_kind:     global_buffer
      - .address_space:  global
        .offset:         56
        .size:           8
        .value_kind:     global_buffer
      - .address_space:  global
        .offset:         64
        .size:           8
        .value_kind:     global_buffer
      - .address_space:  global
        .offset:         72
        .size:           8
        .value_kind:     global_buffer
      - .offset:         80
        .size:           4
        .value_kind:     by_value
      - .address_space:  global
        .offset:         88
        .size:           8
        .value_kind:     global_buffer
      - .address_space:  global
        .offset:         96
        .size:           8
        .value_kind:     global_buffer
    .group_segment_fixed_size: 13440
    .kernarg_segment_align: 8
    .kernarg_segment_size: 104
    .language:       OpenCL C
    .language_version:
      - 2
      - 0
    .max_flat_workgroup_size: 120
    .name:           bluestein_single_back_len84_dim1_dp_op_CI_CI
    .private_segment_fixed_size: 0
    .sgpr_count:     24
    .sgpr_spill_count: 0
    .symbol:         bluestein_single_back_len84_dim1_dp_op_CI_CI.kd
    .uniform_work_group_size: 1
    .uses_dynamic_stack: false
    .vgpr_count:     180
    .vgpr_spill_count: 0
    .wavefront_size: 64
amdhsa.target:   amdgcn-amd-amdhsa--gfx90a
amdhsa.version:
  - 1
  - 2
...

	.end_amdgpu_metadata
